;; amdgpu-corpus repo=ROCm/rocFFT kind=compiled arch=gfx1030 opt=O3
	.text
	.amdgcn_target "amdgcn-amd-amdhsa--gfx1030"
	.amdhsa_code_object_version 6
	.protected	fft_rtc_fwd_len1408_factors_2_2_2_2_2_2_11_2_wgs_176_tpt_176_halfLds_dp_op_CI_CI_unitstride_sbrr_R2C_dirReg ; -- Begin function fft_rtc_fwd_len1408_factors_2_2_2_2_2_2_11_2_wgs_176_tpt_176_halfLds_dp_op_CI_CI_unitstride_sbrr_R2C_dirReg
	.globl	fft_rtc_fwd_len1408_factors_2_2_2_2_2_2_11_2_wgs_176_tpt_176_halfLds_dp_op_CI_CI_unitstride_sbrr_R2C_dirReg
	.p2align	8
	.type	fft_rtc_fwd_len1408_factors_2_2_2_2_2_2_11_2_wgs_176_tpt_176_halfLds_dp_op_CI_CI_unitstride_sbrr_R2C_dirReg,@function
fft_rtc_fwd_len1408_factors_2_2_2_2_2_2_11_2_wgs_176_tpt_176_halfLds_dp_op_CI_CI_unitstride_sbrr_R2C_dirReg: ; @fft_rtc_fwd_len1408_factors_2_2_2_2_2_2_11_2_wgs_176_tpt_176_halfLds_dp_op_CI_CI_unitstride_sbrr_R2C_dirReg
; %bb.0:
	s_clause 0x2
	s_load_dwordx4 s[12:15], s[4:5], 0x0
	s_load_dwordx4 s[8:11], s[4:5], 0x58
	;; [unrolled: 1-line block ×3, first 2 shown]
	v_mul_u32_u24_e32 v1, 0x175, v0
	v_mov_b32_e32 v3, 0
	v_add_nc_u32_sdwa v5, s6, v1 dst_sel:DWORD dst_unused:UNUSED_PAD src0_sel:DWORD src1_sel:WORD_1
	v_mov_b32_e32 v1, 0
	v_mov_b32_e32 v6, v3
	v_mov_b32_e32 v2, 0
	s_waitcnt lgkmcnt(0)
	v_cmp_lt_u64_e64 s0, s[14:15], 2
	s_and_b32 vcc_lo, exec_lo, s0
	s_cbranch_vccnz .LBB0_8
; %bb.1:
	s_load_dwordx2 s[0:1], s[4:5], 0x10
	v_mov_b32_e32 v1, 0
	v_mov_b32_e32 v2, 0
	s_add_u32 s2, s18, 8
	s_addc_u32 s3, s19, 0
	s_add_u32 s6, s16, 8
	s_addc_u32 s7, s17, 0
	v_mov_b32_e32 v85, v2
	v_mov_b32_e32 v84, v1
	s_mov_b64 s[22:23], 1
	s_waitcnt lgkmcnt(0)
	s_add_u32 s20, s0, 8
	s_addc_u32 s21, s1, 0
.LBB0_2:                                ; =>This Inner Loop Header: Depth=1
	s_load_dwordx2 s[24:25], s[20:21], 0x0
                                        ; implicit-def: $vgpr86_vgpr87
	s_mov_b32 s0, exec_lo
	s_waitcnt lgkmcnt(0)
	v_or_b32_e32 v4, s25, v6
	v_cmpx_ne_u64_e32 0, v[3:4]
	s_xor_b32 s1, exec_lo, s0
	s_cbranch_execz .LBB0_4
; %bb.3:                                ;   in Loop: Header=BB0_2 Depth=1
	v_cvt_f32_u32_e32 v4, s24
	v_cvt_f32_u32_e32 v7, s25
	s_sub_u32 s0, 0, s24
	s_subb_u32 s26, 0, s25
	v_fmac_f32_e32 v4, 0x4f800000, v7
	v_rcp_f32_e32 v4, v4
	v_mul_f32_e32 v4, 0x5f7ffffc, v4
	v_mul_f32_e32 v7, 0x2f800000, v4
	v_trunc_f32_e32 v7, v7
	v_fmac_f32_e32 v4, 0xcf800000, v7
	v_cvt_u32_f32_e32 v7, v7
	v_cvt_u32_f32_e32 v4, v4
	v_mul_lo_u32 v8, s0, v7
	v_mul_hi_u32 v9, s0, v4
	v_mul_lo_u32 v10, s26, v4
	v_add_nc_u32_e32 v8, v9, v8
	v_mul_lo_u32 v9, s0, v4
	v_add_nc_u32_e32 v8, v8, v10
	v_mul_hi_u32 v10, v4, v9
	v_mul_lo_u32 v11, v4, v8
	v_mul_hi_u32 v12, v4, v8
	v_mul_hi_u32 v13, v7, v9
	v_mul_lo_u32 v9, v7, v9
	v_mul_hi_u32 v14, v7, v8
	v_mul_lo_u32 v8, v7, v8
	v_add_co_u32 v10, vcc_lo, v10, v11
	v_add_co_ci_u32_e32 v11, vcc_lo, 0, v12, vcc_lo
	v_add_co_u32 v9, vcc_lo, v10, v9
	v_add_co_ci_u32_e32 v9, vcc_lo, v11, v13, vcc_lo
	v_add_co_ci_u32_e32 v10, vcc_lo, 0, v14, vcc_lo
	v_add_co_u32 v8, vcc_lo, v9, v8
	v_add_co_ci_u32_e32 v9, vcc_lo, 0, v10, vcc_lo
	v_add_co_u32 v4, vcc_lo, v4, v8
	v_add_co_ci_u32_e32 v7, vcc_lo, v7, v9, vcc_lo
	v_mul_hi_u32 v8, s0, v4
	v_mul_lo_u32 v10, s26, v4
	v_mul_lo_u32 v9, s0, v7
	v_add_nc_u32_e32 v8, v8, v9
	v_mul_lo_u32 v9, s0, v4
	v_add_nc_u32_e32 v8, v8, v10
	v_mul_hi_u32 v10, v4, v9
	v_mul_lo_u32 v11, v4, v8
	v_mul_hi_u32 v12, v4, v8
	v_mul_hi_u32 v13, v7, v9
	v_mul_lo_u32 v9, v7, v9
	v_mul_hi_u32 v14, v7, v8
	v_mul_lo_u32 v8, v7, v8
	v_add_co_u32 v10, vcc_lo, v10, v11
	v_add_co_ci_u32_e32 v11, vcc_lo, 0, v12, vcc_lo
	v_add_co_u32 v9, vcc_lo, v10, v9
	v_add_co_ci_u32_e32 v9, vcc_lo, v11, v13, vcc_lo
	v_add_co_ci_u32_e32 v10, vcc_lo, 0, v14, vcc_lo
	v_add_co_u32 v8, vcc_lo, v9, v8
	v_add_co_ci_u32_e32 v9, vcc_lo, 0, v10, vcc_lo
	v_add_co_u32 v4, vcc_lo, v4, v8
	v_add_co_ci_u32_e32 v11, vcc_lo, v7, v9, vcc_lo
	v_mul_hi_u32 v13, v5, v4
	v_mad_u64_u32 v[9:10], null, v6, v4, 0
	v_mad_u64_u32 v[7:8], null, v5, v11, 0
	;; [unrolled: 1-line block ×3, first 2 shown]
	v_add_co_u32 v4, vcc_lo, v13, v7
	v_add_co_ci_u32_e32 v7, vcc_lo, 0, v8, vcc_lo
	v_add_co_u32 v4, vcc_lo, v4, v9
	v_add_co_ci_u32_e32 v4, vcc_lo, v7, v10, vcc_lo
	v_add_co_ci_u32_e32 v7, vcc_lo, 0, v12, vcc_lo
	v_add_co_u32 v4, vcc_lo, v4, v11
	v_add_co_ci_u32_e32 v9, vcc_lo, 0, v7, vcc_lo
	v_mul_lo_u32 v10, s25, v4
	v_mad_u64_u32 v[7:8], null, s24, v4, 0
	v_mul_lo_u32 v11, s24, v9
	v_sub_co_u32 v7, vcc_lo, v5, v7
	v_add3_u32 v8, v8, v11, v10
	v_sub_nc_u32_e32 v10, v6, v8
	v_subrev_co_ci_u32_e64 v10, s0, s25, v10, vcc_lo
	v_add_co_u32 v11, s0, v4, 2
	v_add_co_ci_u32_e64 v12, s0, 0, v9, s0
	v_sub_co_u32 v13, s0, v7, s24
	v_sub_co_ci_u32_e32 v8, vcc_lo, v6, v8, vcc_lo
	v_subrev_co_ci_u32_e64 v10, s0, 0, v10, s0
	v_cmp_le_u32_e32 vcc_lo, s24, v13
	v_cmp_eq_u32_e64 s0, s25, v8
	v_cndmask_b32_e64 v13, 0, -1, vcc_lo
	v_cmp_le_u32_e32 vcc_lo, s25, v10
	v_cndmask_b32_e64 v14, 0, -1, vcc_lo
	v_cmp_le_u32_e32 vcc_lo, s24, v7
	;; [unrolled: 2-line block ×3, first 2 shown]
	v_cndmask_b32_e64 v15, 0, -1, vcc_lo
	v_cmp_eq_u32_e32 vcc_lo, s25, v10
	v_cndmask_b32_e64 v7, v15, v7, s0
	v_cndmask_b32_e32 v10, v14, v13, vcc_lo
	v_add_co_u32 v13, vcc_lo, v4, 1
	v_add_co_ci_u32_e32 v14, vcc_lo, 0, v9, vcc_lo
	v_cmp_ne_u32_e32 vcc_lo, 0, v10
	v_cndmask_b32_e32 v8, v14, v12, vcc_lo
	v_cndmask_b32_e32 v10, v13, v11, vcc_lo
	v_cmp_ne_u32_e32 vcc_lo, 0, v7
	v_cndmask_b32_e32 v87, v9, v8, vcc_lo
	v_cndmask_b32_e32 v86, v4, v10, vcc_lo
.LBB0_4:                                ;   in Loop: Header=BB0_2 Depth=1
	s_andn2_saveexec_b32 s0, s1
	s_cbranch_execz .LBB0_6
; %bb.5:                                ;   in Loop: Header=BB0_2 Depth=1
	v_cvt_f32_u32_e32 v4, s24
	s_sub_i32 s1, 0, s24
	v_mov_b32_e32 v87, v3
	v_rcp_iflag_f32_e32 v4, v4
	v_mul_f32_e32 v4, 0x4f7ffffe, v4
	v_cvt_u32_f32_e32 v4, v4
	v_mul_lo_u32 v7, s1, v4
	v_mul_hi_u32 v7, v4, v7
	v_add_nc_u32_e32 v4, v4, v7
	v_mul_hi_u32 v4, v5, v4
	v_mul_lo_u32 v7, v4, s24
	v_add_nc_u32_e32 v8, 1, v4
	v_sub_nc_u32_e32 v7, v5, v7
	v_subrev_nc_u32_e32 v9, s24, v7
	v_cmp_le_u32_e32 vcc_lo, s24, v7
	v_cndmask_b32_e32 v7, v7, v9, vcc_lo
	v_cndmask_b32_e32 v4, v4, v8, vcc_lo
	v_cmp_le_u32_e32 vcc_lo, s24, v7
	v_add_nc_u32_e32 v8, 1, v4
	v_cndmask_b32_e32 v86, v4, v8, vcc_lo
.LBB0_6:                                ;   in Loop: Header=BB0_2 Depth=1
	s_or_b32 exec_lo, exec_lo, s0
	v_mul_lo_u32 v4, v87, s24
	v_mul_lo_u32 v9, v86, s25
	s_load_dwordx2 s[0:1], s[6:7], 0x0
	v_mad_u64_u32 v[7:8], null, v86, s24, 0
	s_load_dwordx2 s[24:25], s[2:3], 0x0
	s_add_u32 s22, s22, 1
	s_addc_u32 s23, s23, 0
	s_add_u32 s2, s2, 8
	s_addc_u32 s3, s3, 0
	s_add_u32 s6, s6, 8
	v_add3_u32 v4, v8, v9, v4
	v_sub_co_u32 v5, vcc_lo, v5, v7
	s_addc_u32 s7, s7, 0
	s_add_u32 s20, s20, 8
	v_sub_co_ci_u32_e32 v4, vcc_lo, v6, v4, vcc_lo
	s_addc_u32 s21, s21, 0
	s_waitcnt lgkmcnt(0)
	v_mul_lo_u32 v6, s0, v4
	v_mul_lo_u32 v7, s1, v5
	v_mad_u64_u32 v[1:2], null, s0, v5, v[1:2]
	v_mul_lo_u32 v4, s24, v4
	v_mul_lo_u32 v8, s25, v5
	v_mad_u64_u32 v[84:85], null, s24, v5, v[84:85]
	v_cmp_ge_u64_e64 s0, s[22:23], s[14:15]
	v_add3_u32 v2, v7, v2, v6
	v_add3_u32 v85, v8, v85, v4
	s_and_b32 vcc_lo, exec_lo, s0
	s_cbranch_vccnz .LBB0_9
; %bb.7:                                ;   in Loop: Header=BB0_2 Depth=1
	v_mov_b32_e32 v5, v86
	v_mov_b32_e32 v6, v87
	s_branch .LBB0_2
.LBB0_8:
	v_mov_b32_e32 v85, v2
	v_mov_b32_e32 v87, v6
	;; [unrolled: 1-line block ×4, first 2 shown]
.LBB0_9:
	s_load_dwordx2 s[0:1], s[4:5], 0x28
	v_mul_hi_u32 v3, 0x1745d18, v0
	s_lshl_b64 s[4:5], s[14:15], 3
                                        ; implicit-def: $vgpr88
                                        ; implicit-def: $vgpr93
                                        ; implicit-def: $vgpr91
                                        ; implicit-def: $vgpr90
	s_add_u32 s2, s18, s4
	s_addc_u32 s3, s19, s5
	s_waitcnt lgkmcnt(0)
	v_cmp_gt_u64_e32 vcc_lo, s[0:1], v[86:87]
	v_cmp_le_u64_e64 s0, s[0:1], v[86:87]
	s_and_saveexec_b32 s1, s0
	s_xor_b32 s0, exec_lo, s1
; %bb.10:
	v_mul_u32_u24_e32 v1, 0xb0, v3
                                        ; implicit-def: $vgpr3
	v_sub_nc_u32_e32 v88, v0, v1
                                        ; implicit-def: $vgpr0
                                        ; implicit-def: $vgpr1_vgpr2
	v_add_nc_u32_e32 v93, 0xb0, v88
	v_add_nc_u32_e32 v91, 0x160, v88
	;; [unrolled: 1-line block ×3, first 2 shown]
; %bb.11:
	s_andn2_saveexec_b32 s1, s0
	s_cbranch_execz .LBB0_13
; %bb.12:
	s_add_u32 s4, s16, s4
	s_addc_u32 s5, s17, s5
	v_lshlrev_b64 v[1:2], 4, v[1:2]
	s_load_dwordx2 s[4:5], s[4:5], 0x0
	s_waitcnt lgkmcnt(0)
	v_mul_lo_u32 v6, s5, v86
	v_mul_lo_u32 v7, s4, v87
	v_mad_u64_u32 v[4:5], null, s4, v86, 0
	v_add3_u32 v5, v5, v7, v6
	v_mul_u32_u24_e32 v6, 0xb0, v3
	v_lshlrev_b64 v[3:4], 4, v[4:5]
	v_sub_nc_u32_e32 v88, v0, v6
	v_lshlrev_b32_e32 v32, 4, v88
	v_add_co_u32 v0, s0, s8, v3
	v_add_co_ci_u32_e64 v3, s0, s9, v4, s0
	v_add_nc_u32_e32 v93, 0xb0, v88
	v_add_co_u32 v0, s0, v0, v1
	v_add_co_ci_u32_e64 v1, s0, v3, v2, s0
	v_add_nc_u32_e32 v91, 0x160, v88
	;; [unrolled: 3-line block ×3, first 2 shown]
	v_add_co_u32 v4, s0, 0x800, v0
	v_add_co_ci_u32_e64 v5, s0, 0, v1, s0
	v_add_co_u32 v8, s0, 0x1000, v0
	v_add_co_ci_u32_e64 v9, s0, 0, v1, s0
	;; [unrolled: 2-line block ×7, first 2 shown]
	s_clause 0x7
	global_load_dwordx4 v[0:3], v[0:1], off
	global_load_dwordx4 v[4:7], v[4:5], off offset:768
	global_load_dwordx4 v[8:11], v[8:9], off offset:1536
	;; [unrolled: 1-line block ×7, first 2 shown]
	v_add_nc_u32_e32 v90, 0x210, v88
	s_waitcnt vmcnt(7)
	ds_write_b128 v32, v[0:3]
	s_waitcnt vmcnt(6)
	ds_write_b128 v32, v[4:7] offset:2816
	s_waitcnt vmcnt(5)
	ds_write_b128 v32, v[8:11] offset:5632
	;; [unrolled: 2-line block ×7, first 2 shown]
.LBB0_13:
	s_or_b32 exec_lo, exec_lo, s1
	v_lshlrev_b32_e32 v96, 4, v88
	s_load_dwordx2 s[2:3], s[2:3], 0x0
	s_waitcnt lgkmcnt(0)
	s_barrier
	buffer_gl0_inv
	v_add_nc_u32_e32 v95, 0, v96
	v_and_b32_e32 v51, 1, v88
	v_lshl_add_u32 v99, v93, 5, 0
	v_lshl_add_u32 v97, v91, 5, 0
	;; [unrolled: 1-line block ×3, first 2 shown]
	ds_read_b128 v[0:3], v95 offset:11264
	ds_read_b128 v[4:7], v95
	ds_read_b128 v[8:11], v95 offset:2816
	ds_read_b128 v[12:15], v95 offset:14080
	;; [unrolled: 1-line block ×6, first 2 shown]
	v_add_nc_u32_e32 v32, v95, v96
	v_lshlrev_b32_e32 v33, 4, v51
	s_waitcnt lgkmcnt(0)
	s_barrier
	buffer_gl0_inv
	v_lshlrev_b32_e32 v44, 4, v93
	v_lshlrev_b32_e32 v45, 4, v91
	;; [unrolled: 1-line block ×3, first 2 shown]
	v_and_b32_e32 v55, 7, v88
	v_and_b32_e32 v57, 31, v93
	;; [unrolled: 1-line block ×4, first 2 shown]
	v_cmp_gt_u32_e64 s0, 0x80, v88
	v_add_f64 v[0:1], v[4:5], -v[0:1]
	v_add_f64 v[2:3], v[6:7], -v[2:3]
	;; [unrolled: 1-line block ×8, first 2 shown]
	v_fma_f64 v[4:5], v[4:5], 2.0, -v[0:1]
	v_fma_f64 v[6:7], v[6:7], 2.0, -v[2:3]
	;; [unrolled: 1-line block ×8, first 2 shown]
	ds_write_b128 v32, v[0:3] offset:16
	ds_write_b128 v99, v[12:15] offset:16
	ds_write_b128 v97, v[16:19] offset:16
	ds_write_b128 v98, v[28:31] offset:16
	ds_write_b128 v32, v[4:7]
	ds_write_b128 v99, v[8:11]
	;; [unrolled: 1-line block ×4, first 2 shown]
	s_waitcnt lgkmcnt(0)
	s_barrier
	buffer_gl0_inv
	global_load_dwordx4 v[3:6], v33, s[12:13]
	ds_read_b128 v[7:10], v95 offset:11264
	ds_read_b128 v[11:14], v95 offset:14080
	;; [unrolled: 1-line block ×4, first 2 shown]
	v_sub_nc_u32_e32 v0, v99, v44
	v_sub_nc_u32_e32 v2, v97, v45
	v_sub_nc_u32_e32 v1, v98, v46
	ds_read_b128 v[23:26], v95
	ds_read_b128 v[27:30], v0
	s_waitcnt vmcnt(0) lgkmcnt(5)
	v_mul_f64 v[31:32], v[9:10], v[5:6]
	v_mul_f64 v[33:34], v[7:8], v[5:6]
	s_waitcnt lgkmcnt(4)
	v_mul_f64 v[35:36], v[13:14], v[5:6]
	v_mul_f64 v[37:38], v[11:12], v[5:6]
	s_waitcnt lgkmcnt(3)
	v_mul_f64 v[39:40], v[17:18], v[5:6]
	v_mul_f64 v[41:42], v[15:16], v[5:6]
	s_waitcnt lgkmcnt(2)
	v_mul_f64 v[47:48], v[21:22], v[5:6]
	v_mul_f64 v[49:50], v[19:20], v[5:6]
	v_fma_f64 v[31:32], v[7:8], v[3:4], -v[31:32]
	v_fma_f64 v[33:34], v[9:10], v[3:4], v[33:34]
	v_fma_f64 v[35:36], v[11:12], v[3:4], -v[35:36]
	v_fma_f64 v[37:38], v[13:14], v[3:4], v[37:38]
	;; [unrolled: 2-line block ×3, first 2 shown]
	v_fma_f64 v[47:48], v[19:20], v[3:4], -v[47:48]
	ds_read_b128 v[5:8], v2
	ds_read_b128 v[9:12], v1
	v_fma_f64 v[3:4], v[21:22], v[3:4], v[49:50]
	s_waitcnt lgkmcnt(0)
	s_barrier
	buffer_gl0_inv
	v_add_f64 v[13:14], v[23:24], -v[31:32]
	v_add_f64 v[15:16], v[25:26], -v[33:34]
	;; [unrolled: 1-line block ×4, first 2 shown]
	v_lshlrev_b32_e32 v35, 1, v88
	v_add_f64 v[36:37], v[5:6], -v[39:40]
	v_add_f64 v[38:39], v[7:8], -v[41:42]
	v_add_f64 v[40:41], v[9:10], -v[47:48]
	v_lshlrev_b32_e32 v33, 1, v93
	v_add_f64 v[42:43], v[11:12], -v[3:4]
	v_lshlrev_b32_e32 v34, 1, v91
	v_lshlrev_b32_e32 v32, 1, v90
	v_and_b32_e32 v31, 3, v88
	v_lshlrev_b32_e32 v47, 4, v31
	v_fma_f64 v[21:22], v[23:24], 2.0, -v[13:14]
	v_fma_f64 v[23:24], v[25:26], 2.0, -v[15:16]
	;; [unrolled: 1-line block ×4, first 2 shown]
	v_and_or_b32 v29, 0x7fc, v34, v51
	v_fma_f64 v[3:4], v[5:6], 2.0, -v[36:37]
	v_fma_f64 v[5:6], v[7:8], 2.0, -v[38:39]
	v_fma_f64 v[7:8], v[9:10], 2.0, -v[40:41]
	v_and_or_b32 v30, 0x7fc, v32, v51
	v_fma_f64 v[9:10], v[11:12], 2.0, -v[42:43]
	v_and_or_b32 v11, 0x1fc, v35, v51
	v_and_or_b32 v12, 0x3fc, v33, v51
	v_lshl_add_u32 v29, v29, 4, 0
	v_lshl_add_u32 v30, v30, 4, 0
	;; [unrolled: 1-line block ×4, first 2 shown]
	ds_write_b128 v11, v[13:16] offset:32
	ds_write_b128 v11, v[21:24]
	ds_write_b128 v12, v[25:28]
	ds_write_b128 v12, v[17:20] offset:32
	ds_write_b128 v29, v[3:6]
	ds_write_b128 v29, v[36:39] offset:32
	;; [unrolled: 2-line block ×3, first 2 shown]
	s_waitcnt lgkmcnt(0)
	s_barrier
	buffer_gl0_inv
	global_load_dwordx4 v[3:6], v47, s[12:13] offset:32
	ds_read_b128 v[7:10], v95 offset:11264
	ds_read_b128 v[11:14], v95 offset:14080
	;; [unrolled: 1-line block ×4, first 2 shown]
	ds_read_b128 v[23:26], v95
	ds_read_b128 v[27:30], v0
	s_waitcnt vmcnt(0) lgkmcnt(5)
	v_mul_f64 v[36:37], v[9:10], v[5:6]
	v_mul_f64 v[38:39], v[7:8], v[5:6]
	s_waitcnt lgkmcnt(4)
	v_mul_f64 v[40:41], v[13:14], v[5:6]
	v_mul_f64 v[42:43], v[11:12], v[5:6]
	s_waitcnt lgkmcnt(3)
	;; [unrolled: 3-line block ×3, first 2 shown]
	v_mul_f64 v[51:52], v[21:22], v[5:6]
	v_mul_f64 v[53:54], v[19:20], v[5:6]
	v_fma_f64 v[36:37], v[7:8], v[3:4], -v[36:37]
	v_fma_f64 v[38:39], v[9:10], v[3:4], v[38:39]
	v_fma_f64 v[40:41], v[11:12], v[3:4], -v[40:41]
	v_fma_f64 v[42:43], v[13:14], v[3:4], v[42:43]
	;; [unrolled: 2-line block ×3, first 2 shown]
	v_fma_f64 v[51:52], v[19:20], v[3:4], -v[51:52]
	ds_read_b128 v[5:8], v2
	ds_read_b128 v[9:12], v1
	v_fma_f64 v[3:4], v[21:22], v[3:4], v[53:54]
	s_waitcnt lgkmcnt(0)
	s_barrier
	buffer_gl0_inv
	v_add_f64 v[13:14], v[23:24], -v[36:37]
	v_add_f64 v[15:16], v[25:26], -v[38:39]
	;; [unrolled: 1-line block ×8, first 2 shown]
	v_fma_f64 v[21:22], v[23:24], 2.0, -v[13:14]
	v_fma_f64 v[23:24], v[25:26], 2.0, -v[15:16]
	;; [unrolled: 1-line block ×4, first 2 shown]
	v_and_or_b32 v29, 0x7f8, v34, v31
	v_fma_f64 v[3:4], v[5:6], 2.0, -v[36:37]
	v_fma_f64 v[5:6], v[7:8], 2.0, -v[38:39]
	;; [unrolled: 1-line block ×3, first 2 shown]
	v_and_or_b32 v30, 0x7f8, v32, v31
	v_fma_f64 v[9:10], v[11:12], 2.0, -v[42:43]
	v_and_or_b32 v11, 0x1f8, v35, v31
	v_and_or_b32 v12, 0x3f8, v33, v31
	v_lshlrev_b32_e32 v31, 4, v55
	v_lshl_add_u32 v29, v29, 4, 0
	v_lshl_add_u32 v30, v30, 4, 0
	;; [unrolled: 1-line block ×4, first 2 shown]
	ds_write_b128 v11, v[13:16] offset:64
	ds_write_b128 v11, v[21:24]
	ds_write_b128 v12, v[25:28]
	ds_write_b128 v12, v[17:20] offset:64
	ds_write_b128 v29, v[3:6]
	ds_write_b128 v29, v[36:39] offset:64
	;; [unrolled: 2-line block ×3, first 2 shown]
	s_waitcnt lgkmcnt(0)
	s_barrier
	buffer_gl0_inv
	global_load_dwordx4 v[3:6], v31, s[12:13] offset:96
	ds_read_b128 v[7:10], v95 offset:11264
	ds_read_b128 v[11:14], v95 offset:14080
	;; [unrolled: 1-line block ×4, first 2 shown]
	ds_read_b128 v[23:26], v95
	ds_read_b128 v[27:30], v0
	v_and_b32_e32 v31, 15, v88
	s_waitcnt vmcnt(0) lgkmcnt(5)
	v_mul_f64 v[36:37], v[9:10], v[5:6]
	v_mul_f64 v[38:39], v[7:8], v[5:6]
	s_waitcnt lgkmcnt(4)
	v_mul_f64 v[40:41], v[13:14], v[5:6]
	v_mul_f64 v[42:43], v[11:12], v[5:6]
	s_waitcnt lgkmcnt(3)
	;; [unrolled: 3-line block ×3, first 2 shown]
	v_mul_f64 v[51:52], v[21:22], v[5:6]
	v_mul_f64 v[53:54], v[19:20], v[5:6]
	v_fma_f64 v[36:37], v[7:8], v[3:4], -v[36:37]
	v_fma_f64 v[38:39], v[9:10], v[3:4], v[38:39]
	v_fma_f64 v[40:41], v[11:12], v[3:4], -v[40:41]
	v_fma_f64 v[42:43], v[13:14], v[3:4], v[42:43]
	;; [unrolled: 2-line block ×3, first 2 shown]
	v_fma_f64 v[51:52], v[19:20], v[3:4], -v[51:52]
	ds_read_b128 v[5:8], v2
	ds_read_b128 v[9:12], v1
	v_fma_f64 v[3:4], v[21:22], v[3:4], v[53:54]
	s_waitcnt lgkmcnt(0)
	s_barrier
	buffer_gl0_inv
	v_add_f64 v[13:14], v[23:24], -v[36:37]
	v_add_f64 v[15:16], v[25:26], -v[38:39]
	;; [unrolled: 1-line block ×7, first 2 shown]
	v_lshlrev_b32_e32 v47, 4, v31
	v_add_f64 v[42:43], v[11:12], -v[3:4]
	v_fma_f64 v[21:22], v[23:24], 2.0, -v[13:14]
	v_fma_f64 v[23:24], v[25:26], 2.0, -v[15:16]
	;; [unrolled: 1-line block ×4, first 2 shown]
	v_and_or_b32 v29, 0x7f0, v34, v55
	v_fma_f64 v[3:4], v[5:6], 2.0, -v[36:37]
	v_fma_f64 v[5:6], v[7:8], 2.0, -v[38:39]
	;; [unrolled: 1-line block ×3, first 2 shown]
	v_and_or_b32 v30, 0x7f0, v32, v55
	v_fma_f64 v[9:10], v[11:12], 2.0, -v[42:43]
	v_and_or_b32 v11, 0x1f0, v35, v55
	v_and_or_b32 v12, 0x3f0, v33, v55
	v_lshl_add_u32 v29, v29, 4, 0
	v_lshl_add_u32 v30, v30, 4, 0
	;; [unrolled: 1-line block ×4, first 2 shown]
	ds_write_b128 v11, v[13:16] offset:128
	ds_write_b128 v11, v[21:24]
	ds_write_b128 v12, v[25:28]
	ds_write_b128 v12, v[17:20] offset:128
	ds_write_b128 v29, v[3:6]
	ds_write_b128 v29, v[36:39] offset:128
	;; [unrolled: 2-line block ×3, first 2 shown]
	s_waitcnt lgkmcnt(0)
	s_barrier
	buffer_gl0_inv
	global_load_dwordx4 v[3:6], v47, s[12:13] offset:224
	ds_read_b128 v[7:10], v95 offset:11264
	ds_read_b128 v[11:14], v95 offset:14080
	;; [unrolled: 1-line block ×4, first 2 shown]
	ds_read_b128 v[23:26], v95
	ds_read_b128 v[27:30], v0
	s_waitcnt vmcnt(0) lgkmcnt(5)
	v_mul_f64 v[36:37], v[9:10], v[5:6]
	v_mul_f64 v[38:39], v[7:8], v[5:6]
	s_waitcnt lgkmcnt(4)
	v_mul_f64 v[40:41], v[13:14], v[5:6]
	v_mul_f64 v[42:43], v[11:12], v[5:6]
	s_waitcnt lgkmcnt(3)
	;; [unrolled: 3-line block ×3, first 2 shown]
	v_mul_f64 v[51:52], v[21:22], v[5:6]
	v_mul_f64 v[53:54], v[19:20], v[5:6]
	v_fma_f64 v[36:37], v[7:8], v[3:4], -v[36:37]
	v_fma_f64 v[38:39], v[9:10], v[3:4], v[38:39]
	v_fma_f64 v[40:41], v[11:12], v[3:4], -v[40:41]
	v_fma_f64 v[42:43], v[13:14], v[3:4], v[42:43]
	;; [unrolled: 2-line block ×3, first 2 shown]
	v_fma_f64 v[51:52], v[19:20], v[3:4], -v[51:52]
	ds_read_b128 v[5:8], v2
	ds_read_b128 v[9:12], v1
	v_fma_f64 v[3:4], v[21:22], v[3:4], v[53:54]
	s_waitcnt lgkmcnt(0)
	s_barrier
	buffer_gl0_inv
	v_add_f64 v[13:14], v[23:24], -v[36:37]
	v_add_f64 v[15:16], v[25:26], -v[38:39]
	v_add_f64 v[17:18], v[27:28], -v[40:41]
	v_add_f64 v[19:20], v[29:30], -v[42:43]
	v_add_f64 v[36:37], v[5:6], -v[47:48]
	v_add_f64 v[38:39], v[7:8], -v[49:50]
	v_add_f64 v[40:41], v[9:10], -v[51:52]
	v_lshlrev_b32_e32 v47, 4, v58
	v_add_f64 v[42:43], v[11:12], -v[3:4]
	v_lshlrev_b32_e32 v48, 4, v59
	v_fma_f64 v[21:22], v[23:24], 2.0, -v[13:14]
	v_fma_f64 v[23:24], v[25:26], 2.0, -v[15:16]
	;; [unrolled: 1-line block ×4, first 2 shown]
	v_and_or_b32 v29, 0x7e0, v34, v31
	v_fma_f64 v[3:4], v[5:6], 2.0, -v[36:37]
	v_fma_f64 v[5:6], v[7:8], 2.0, -v[38:39]
	;; [unrolled: 1-line block ×3, first 2 shown]
	v_and_or_b32 v30, 0x7e0, v32, v31
	v_fma_f64 v[9:10], v[11:12], 2.0, -v[42:43]
	v_and_or_b32 v11, 0x1e0, v35, v31
	v_and_or_b32 v12, 0x3e0, v33, v31
	v_lshlrev_b32_e32 v31, 4, v57
	v_lshl_add_u32 v29, v29, 4, 0
	v_lshl_add_u32 v30, v30, 4, 0
	;; [unrolled: 1-line block ×4, first 2 shown]
	ds_write_b128 v11, v[13:16] offset:256
	ds_write_b128 v11, v[21:24]
	ds_write_b128 v12, v[25:28]
	ds_write_b128 v12, v[17:20] offset:256
	ds_write_b128 v29, v[3:6]
	ds_write_b128 v29, v[36:39] offset:256
	;; [unrolled: 2-line block ×3, first 2 shown]
	s_waitcnt lgkmcnt(0)
	s_barrier
	buffer_gl0_inv
	s_clause 0x2
	global_load_dwordx4 v[3:6], v31, s[12:13] offset:480
	global_load_dwordx4 v[7:10], v47, s[12:13] offset:480
	;; [unrolled: 1-line block ×3, first 2 shown]
	ds_read_b128 v[15:18], v95 offset:14080
	ds_read_b128 v[19:22], v95 offset:11264
	;; [unrolled: 1-line block ×4, first 2 shown]
	ds_read_b128 v[36:39], v95
	ds_read_b128 v[40:43], v0
	v_and_or_b32 v35, 0x1c0, v35, v58
	v_and_or_b32 v33, 0x3c0, v33, v57
	;; [unrolled: 1-line block ×4, first 2 shown]
	v_lshl_add_u32 v35, v35, 4, 0
	v_lshl_add_u32 v33, v33, 4, 0
	v_lshl_add_u32 v32, v32, 4, 0
	v_lshl_add_u32 v34, v34, 4, 0
	s_waitcnt vmcnt(2) lgkmcnt(5)
	v_mul_f64 v[47:48], v[17:18], v[5:6]
	s_waitcnt vmcnt(1) lgkmcnt(4)
	v_mul_f64 v[49:50], v[21:22], v[9:10]
	v_mul_f64 v[51:52], v[19:20], v[9:10]
	;; [unrolled: 1-line block ×3, first 2 shown]
	s_waitcnt lgkmcnt(3)
	v_mul_f64 v[53:54], v[25:26], v[9:10]
	v_mul_f64 v[9:10], v[23:24], v[9:10]
	s_waitcnt vmcnt(0) lgkmcnt(2)
	v_mul_f64 v[55:56], v[29:30], v[13:14]
	v_mul_f64 v[13:14], v[27:28], v[13:14]
	v_fma_f64 v[15:16], v[15:16], v[3:4], -v[47:48]
	v_fma_f64 v[47:48], v[19:20], v[7:8], -v[49:50]
	v_fma_f64 v[49:50], v[21:22], v[7:8], v[51:52]
	v_fma_f64 v[17:18], v[17:18], v[3:4], v[5:6]
	v_fma_f64 v[51:52], v[23:24], v[7:8], -v[53:54]
	v_fma_f64 v[53:54], v[25:26], v[7:8], v[9:10]
	v_fma_f64 v[55:56], v[27:28], v[11:12], -v[55:56]
	ds_read_b128 v[20:23], v2
	ds_read_b128 v[24:27], v1
	v_fma_f64 v[2:3], v[29:30], v[11:12], v[13:14]
	s_waitcnt lgkmcnt(0)
	s_barrier
	buffer_gl0_inv
	v_add_f64 v[8:9], v[40:41], -v[15:16]
	v_add_f64 v[4:5], v[36:37], -v[47:48]
	;; [unrolled: 1-line block ×8, first 2 shown]
	v_fma_f64 v[12:13], v[40:41], 2.0, -v[8:9]
	v_fma_f64 v[0:1], v[36:37], 2.0, -v[4:5]
	;; [unrolled: 1-line block ×4, first 2 shown]
                                        ; implicit-def: $vgpr42_vgpr43
                                        ; implicit-def: $vgpr38_vgpr39
	v_fma_f64 v[20:21], v[20:21], 2.0, -v[16:17]
	v_fma_f64 v[22:23], v[22:23], 2.0, -v[18:19]
	;; [unrolled: 1-line block ×4, first 2 shown]
	ds_write_b128 v35, v[4:7] offset:512
	ds_write_b128 v35, v[0:3]
	ds_write_b128 v33, v[12:15]
	ds_write_b128 v33, v[8:11] offset:512
	ds_write_b128 v34, v[20:23]
	ds_write_b128 v34, v[16:19] offset:512
	;; [unrolled: 2-line block ×3, first 2 shown]
	s_waitcnt lgkmcnt(0)
	s_barrier
	buffer_gl0_inv
                                        ; implicit-def: $vgpr34_vgpr35
	s_and_saveexec_b32 s1, s0
	s_cbranch_execz .LBB0_15
; %bb.14:
	ds_read_b128 v[0:3], v95
	ds_read_b128 v[4:7], v95 offset:2048
	ds_read_b128 v[12:15], v95 offset:4096
	;; [unrolled: 1-line block ×10, first 2 shown]
.LBB0_15:
	s_or_b32 exec_lo, exec_lo, s1
	v_sub_nc_u32_e32 v102, 0, v44
	v_sub_nc_u32_e32 v100, 0, v45
	;; [unrolled: 1-line block ×3, first 2 shown]
	s_waitcnt lgkmcnt(0)
	s_barrier
	buffer_gl0_inv
	s_and_saveexec_b32 s33, s0
	s_cbranch_execz .LBB0_17
; %bb.16:
	v_and_b32_e32 v89, 63, v88
	s_mov_b32 s4, 0x640f44db
	s_mov_b32 s14, 0x43842ef
	;; [unrolled: 1-line block ×4, first 2 shown]
	v_mul_u32_u24_e32 v44, 10, v89
	s_mov_b32 s8, 0x7f775887
	s_mov_b32 s0, 0x9bcd5057
	;; [unrolled: 1-line block ×4, first 2 shown]
	v_lshlrev_b32_e32 v56, 4, v44
	s_mov_b32 s24, 0xf8bb580b
	s_mov_b32 s22, 0xfd768dbf
	;; [unrolled: 1-line block ×4, first 2 shown]
	s_clause 0x9
	global_load_dwordx4 v[44:47], v56, s[12:13] offset:992
	global_load_dwordx4 v[52:55], v56, s[12:13] offset:1136
	;; [unrolled: 1-line block ×10, first 2 shown]
	s_mov_b32 s7, 0x3fda9628
	s_mov_b32 s17, 0xbfed1bb4
	;; [unrolled: 1-line block ×18, first 2 shown]
	v_lshrrev_b32_e32 v92, 6, v88
	v_mul_u32_u24_e32 v92, 0x2c0, v92
	s_waitcnt vmcnt(9)
	v_mul_f64 v[103:104], v[4:5], v[46:47]
	s_waitcnt vmcnt(8)
	v_mul_f64 v[105:106], v[40:41], v[54:55]
	v_mul_f64 v[46:47], v[6:7], v[46:47]
	;; [unrolled: 1-line block ×3, first 2 shown]
	s_waitcnt vmcnt(7)
	v_mul_f64 v[107:108], v[12:13], v[50:51]
	v_mul_f64 v[50:51], v[14:15], v[50:51]
	s_waitcnt vmcnt(5)
	v_mul_f64 v[111:112], v[8:9], v[66:67]
	v_mul_f64 v[66:67], v[10:11], v[66:67]
	;; [unrolled: 1-line block ×3, first 2 shown]
	s_waitcnt vmcnt(0)
	v_mul_f64 v[121:122], v[24:25], v[58:59]
	v_mul_f64 v[58:59], v[26:27], v[58:59]
	;; [unrolled: 1-line block ×11, first 2 shown]
	v_fma_f64 v[6:7], v[6:7], v[44:45], v[103:104]
	v_fma_f64 v[42:43], v[42:43], v[52:53], v[105:106]
	v_fma_f64 v[4:5], v[4:5], v[44:45], -v[46:47]
	v_fma_f64 v[40:41], v[40:41], v[52:53], -v[54:55]
	v_fma_f64 v[14:15], v[14:15], v[48:49], v[107:108]
	v_fma_f64 v[12:13], v[12:13], v[48:49], -v[50:51]
	v_fma_f64 v[10:11], v[10:11], v[64:65], v[111:112]
	;; [unrolled: 2-line block ×3, first 2 shown]
	v_fma_f64 v[26:27], v[26:27], v[56:57], v[121:122]
	v_fma_f64 v[24:25], v[24:25], v[56:57], -v[58:59]
	v_fma_f64 v[34:35], v[34:35], v[68:69], v[113:114]
	v_fma_f64 v[22:23], v[22:23], v[80:81], v[115:116]
	;; [unrolled: 1-line block ×4, first 2 shown]
	v_fma_f64 v[20:21], v[20:21], v[80:81], -v[82:83]
	v_fma_f64 v[36:37], v[36:37], v[76:77], -v[78:79]
	;; [unrolled: 1-line block ×5, first 2 shown]
	v_add_f64 v[44:45], v[6:7], v[42:43]
	v_add_f64 v[46:47], v[6:7], -v[42:43]
	v_add_f64 v[54:55], v[4:5], -v[40:41]
	v_add_f64 v[56:57], v[4:5], v[40:41]
	v_add_f64 v[6:7], v[2:3], v[6:7]
	;; [unrolled: 1-line block ×4, first 2 shown]
	v_add_f64 v[50:51], v[14:15], -v[38:39]
	v_add_f64 v[52:53], v[10:11], v[34:35]
	v_add_f64 v[64:65], v[10:11], -v[34:35]
	v_add_f64 v[68:69], v[22:23], v[30:31]
	;; [unrolled: 2-line block ×3, first 2 shown]
	v_add_f64 v[80:81], v[18:19], -v[26:27]
	v_add_f64 v[58:59], v[12:13], -v[36:37]
	v_add_f64 v[60:61], v[12:13], v[36:37]
	v_add_f64 v[62:63], v[8:9], -v[32:33]
	v_add_f64 v[66:67], v[8:9], v[32:33]
	;; [unrolled: 2-line block ×3, first 2 shown]
	v_mul_f64 v[103:104], v[44:45], s[0:1]
	v_mul_f64 v[105:106], v[44:45], s[8:9]
	;; [unrolled: 1-line block ×4, first 2 shown]
	v_add_f64 v[6:7], v[6:7], v[14:15]
	v_add_f64 v[4:5], v[4:5], v[12:13]
	v_mul_f64 v[44:45], v[44:45], s[20:21]
	v_mul_f64 v[111:112], v[46:47], s[36:37]
	;; [unrolled: 1-line block ×6, first 2 shown]
	v_add_f64 v[78:79], v[16:17], -v[24:25]
	v_add_f64 v[82:83], v[16:17], v[24:25]
	v_mul_f64 v[119:120], v[48:49], s[20:21]
	v_mul_f64 v[121:122], v[50:51], s[34:35]
	;; [unrolled: 1-line block ×12, first 2 shown]
	v_add_f64 v[6:7], v[6:7], v[10:11]
	v_add_f64 v[4:5], v[4:5], v[8:9]
	v_mul_f64 v[48:49], v[48:49], s[6:7]
	v_mul_f64 v[50:51], v[50:51], s[16:17]
	v_mul_f64 v[52:53], v[52:53], s[4:5]
	v_mul_f64 v[12:13], v[64:65], s[26:27]
	v_mul_f64 v[14:15], v[64:65], s[24:25]
	v_mul_f64 v[143:144], v[64:65], s[28:29]
	v_mul_f64 v[145:146], v[64:65], s[22:23]
	v_mul_f64 v[64:65], v[64:65], s[30:31]
	v_mul_f64 v[147:148], v[68:69], s[6:7]
	v_mul_f64 v[149:150], v[68:69], s[0:1]
	v_mul_f64 v[151:152], v[68:69], s[20:21]
	v_mul_f64 v[153:154], v[68:69], s[4:5]
	v_mul_f64 v[68:69], v[68:69], s[8:9]
	v_mul_f64 v[155:156], v[72:73], s[28:29]
	v_mul_f64 v[157:158], v[72:73], s[36:37]
	v_mul_f64 v[159:160], v[72:73], s[24:25]
	v_mul_f64 v[161:162], v[72:73], s[14:15]
	v_mul_f64 v[72:73], v[72:73], s[26:27]
	v_mul_f64 v[163:164], v[76:77], s[4:5]
	v_mul_f64 v[165:166], v[76:77], s[6:7]
	v_add_f64 v[6:7], v[6:7], v[22:23]
	v_add_f64 v[4:5], v[4:5], v[20:21]
	v_mul_f64 v[167:168], v[76:77], s[8:9]
	v_mul_f64 v[169:170], v[76:77], s[20:21]
	;; [unrolled: 1-line block ×8, first 2 shown]
	v_fma_f64 v[179:180], v[54:55], s[22:23], v[103:104]
	v_fma_f64 v[103:104], v[54:55], s[36:37], v[103:104]
	;; [unrolled: 1-line block ×11, first 2 shown]
	v_fma_f64 v[111:112], v[56:57], s[0:1], -v[111:112]
	v_fma_f64 v[195:196], v[56:57], s[20:21], v[46:47]
	v_fma_f64 v[46:47], v[56:57], s[20:21], -v[46:47]
	v_fma_f64 v[193:194], v[56:57], s[6:7], v[117:118]
	;; [unrolled: 2-line block ×4, first 2 shown]
	v_fma_f64 v[113:114], v[56:57], s[8:9], -v[113:114]
	v_add_f64 v[6:7], v[6:7], v[18:19]
	v_add_f64 v[4:5], v[4:5], v[16:17]
	v_fma_f64 v[56:57], v[58:59], s[24:25], v[119:120]
	v_fma_f64 v[197:198], v[60:61], s[20:21], v[121:122]
	v_fma_f64 v[119:120], v[58:59], s[34:35], v[119:120]
	v_fma_f64 v[121:122], v[60:61], s[20:21], -v[121:122]
	v_fma_f64 v[199:200], v[58:59], s[30:31], v[125:126]
	v_fma_f64 v[201:202], v[60:61], s[4:5], v[127:128]
	v_fma_f64 v[125:126], v[58:59], s[14:15], v[125:126]
	v_fma_f64 v[127:128], v[60:61], s[4:5], -v[127:128]
	;; [unrolled: 4-line block ×3, first 2 shown]
	v_fma_f64 v[207:208], v[58:59], s[26:27], v[137:138]
	v_fma_f64 v[209:210], v[60:61], s[8:9], -v[139:140]
	v_fma_f64 v[211:212], v[58:59], s[16:17], v[48:49]
	v_fma_f64 v[137:138], v[58:59], s[18:19], v[137:138]
	v_fma_f64 v[48:49], v[58:59], s[28:29], v[48:49]
	v_fma_f64 v[58:59], v[60:61], s[6:7], -v[50:51]
	v_fma_f64 v[139:140], v[60:61], s[8:9], v[139:140]
	v_fma_f64 v[50:51], v[60:61], s[6:7], v[50:51]
	;; [unrolled: 1-line block ×13, first 2 shown]
	v_fma_f64 v[10:11], v[66:67], s[8:9], -v[12:13]
	v_fma_f64 v[12:13], v[66:67], s[20:21], v[14:15]
	v_fma_f64 v[14:15], v[66:67], s[20:21], -v[14:15]
	v_fma_f64 v[62:63], v[66:67], s[6:7], v[143:144]
	v_fma_f64 v[143:144], v[66:67], s[6:7], -v[143:144]
	v_fma_f64 v[221:222], v[66:67], s[0:1], -v[145:146]
	v_fma_f64 v[145:146], v[66:67], s[0:1], v[145:146]
	v_fma_f64 v[223:224], v[66:67], s[4:5], -v[64:65]
	v_fma_f64 v[64:65], v[66:67], s[4:5], v[64:65]
	v_fma_f64 v[66:67], v[70:71], s[16:17], v[147:148]
	;; [unrolled: 1-line block ×12, first 2 shown]
	v_fma_f64 v[155:156], v[74:75], s[6:7], -v[155:156]
	v_fma_f64 v[233:234], v[74:75], s[0:1], v[157:158]
	v_fma_f64 v[157:158], v[74:75], s[0:1], -v[157:158]
	v_fma_f64 v[235:236], v[74:75], s[20:21], v[159:160]
	v_fma_f64 v[159:160], v[74:75], s[20:21], -v[159:160]
	v_fma_f64 v[237:238], v[74:75], s[4:5], -v[161:162]
	v_fma_f64 v[161:162], v[74:75], s[4:5], v[161:162]
	v_fma_f64 v[239:240], v[74:75], s[8:9], -v[72:73]
	v_fma_f64 v[20:21], v[74:75], s[8:9], v[72:73]
	v_fma_f64 v[22:23], v[78:79], s[14:15], v[163:164]
	;; [unrolled: 1-line block ×12, first 2 shown]
	v_fma_f64 v[171:172], v[82:83], s[4:5], -v[171:172]
	v_fma_f64 v[245:246], v[82:83], s[6:7], v[173:174]
	v_fma_f64 v[173:174], v[82:83], s[6:7], -v[173:174]
	v_fma_f64 v[247:248], v[82:83], s[8:9], v[175:176]
	v_fma_f64 v[175:176], v[82:83], s[8:9], -v[175:176]
	v_fma_f64 v[249:250], v[82:83], s[20:21], -v[177:178]
	v_fma_f64 v[177:178], v[82:83], s[20:21], v[177:178]
	v_fma_f64 v[251:252], v[82:83], s[0:1], -v[80:81]
	v_fma_f64 v[80:81], v[82:83], s[0:1], v[80:81]
	v_add_f64 v[18:19], v[0:1], v[54:55]
	v_add_f64 v[54:55], v[2:3], v[103:104]
	;; [unrolled: 1-line block ×110, first 2 shown]
	v_or_b32_e32 v44, v92, v89
	v_lshl_add_u32 v44, v44, 4, 0
	ds_write_b128 v44, v[24:27] offset:1024
	ds_write_b128 v44, v[20:23] offset:2048
	;; [unrolled: 1-line block ×9, first 2 shown]
	ds_write_b128 v44, v[40:43]
	ds_write_b128 v44, v[36:39] offset:10240
.LBB0_17:
	s_or_b32 exec_lo, exec_lo, s33
	v_mov_b32_e32 v89, 0
	s_waitcnt lgkmcnt(0)
	s_barrier
	buffer_gl0_inv
	v_add_nc_u32_e32 v20, v99, v102
	v_lshlrev_b64 v[2:3], 4, v[88:89]
	v_mov_b32_e32 v94, v89
	v_mov_b32_e32 v92, v89
	s_add_u32 s1, s12, 0x57e0
	s_addc_u32 s4, s13, 0
	s_mov_b32 s5, exec_lo
	v_add_co_u32 v0, s0, s12, v2
	v_lshlrev_b64 v[12:13], 4, v[93:94]
	v_add_co_ci_u32_e64 v1, s0, s13, v3, s0
	v_add_co_u32 v0, s0, 0x2800, v0
	v_lshlrev_b64 v[10:11], 4, v[91:92]
	v_add_co_ci_u32_e64 v1, s0, 0, v1, s0
	v_add_co_u32 v8, s0, s12, v12
	v_add_co_ci_u32_e64 v9, s0, s13, v13, s0
	v_mov_b32_e32 v91, v89
	global_load_dwordx4 v[4:7], v[0:1], off offset:992
	v_add_co_u32 v0, s0, 0x2800, v8
	v_add_co_ci_u32_e64 v1, s0, 0, v9, s0
	v_lshlrev_b64 v[8:9], 4, v[90:91]
	v_add_co_u32 v14, s0, s12, v10
	v_add_co_ci_u32_e64 v15, s0, s13, v11, s0
	v_add_co_u32 v16, s0, s12, v8
	v_add_co_ci_u32_e64 v17, s0, s13, v9, s0
	;; [unrolled: 2-line block ×4, first 2 shown]
	s_clause 0x2
	global_load_dwordx4 v[14:17], v[0:1], off offset:992
	global_load_dwordx4 v[21:24], v[18:19], off offset:992
	;; [unrolled: 1-line block ×3, first 2 shown]
	ds_read_b128 v[29:32], v95 offset:11264
	ds_read_b128 v[33:36], v95 offset:14080
	;; [unrolled: 1-line block ×4, first 2 shown]
	v_add_nc_u32_e32 v19, v97, v100
	v_add_nc_u32_e32 v18, v98, v101
	ds_read_b128 v[45:48], v95
	ds_read_b128 v[49:52], v20
	s_waitcnt vmcnt(3) lgkmcnt(5)
	v_mul_f64 v[0:1], v[31:32], v[6:7]
	v_mul_f64 v[6:7], v[29:30], v[6:7]
	s_waitcnt vmcnt(2) lgkmcnt(4)
	v_mul_f64 v[53:54], v[35:36], v[16:17]
	v_mul_f64 v[16:17], v[33:34], v[16:17]
	;; [unrolled: 3-line block ×4, first 2 shown]
	v_fma_f64 v[0:1], v[29:30], v[4:5], -v[0:1]
	v_fma_f64 v[29:30], v[31:32], v[4:5], v[6:7]
	ds_read_b128 v[4:7], v19
	v_fma_f64 v[31:32], v[33:34], v[14:15], -v[53:54]
	v_fma_f64 v[33:34], v[35:36], v[14:15], v[16:17]
	ds_read_b128 v[14:17], v18
	v_fma_f64 v[35:36], v[37:38], v[21:22], -v[55:56]
	v_fma_f64 v[37:38], v[39:40], v[21:22], v[23:24]
	v_fma_f64 v[39:40], v[41:42], v[25:26], -v[57:58]
	v_fma_f64 v[41:42], v[43:44], v[25:26], v[27:28]
	s_waitcnt lgkmcnt(3)
	v_add_f64 v[21:22], v[45:46], -v[0:1]
	v_add_f64 v[23:24], v[47:48], -v[29:30]
	s_waitcnt lgkmcnt(0)
	s_barrier
	buffer_gl0_inv
                                        ; implicit-def: $vgpr0_vgpr1
	v_add_f64 v[25:26], v[49:50], -v[31:32]
	v_add_f64 v[27:28], v[51:52], -v[33:34]
	;; [unrolled: 1-line block ×6, first 2 shown]
	v_fma_f64 v[37:38], v[45:46], 2.0, -v[21:22]
	v_fma_f64 v[39:40], v[47:48], 2.0, -v[23:24]
	v_fma_f64 v[41:42], v[49:50], 2.0, -v[25:26]
	v_fma_f64 v[43:44], v[51:52], 2.0, -v[27:28]
	v_fma_f64 v[4:5], v[4:5], 2.0, -v[29:30]
	v_fma_f64 v[6:7], v[6:7], 2.0, -v[31:32]
	v_fma_f64 v[14:15], v[14:15], 2.0, -v[33:34]
	v_fma_f64 v[16:17], v[16:17], 2.0, -v[35:36]
	ds_write_b128 v95, v[21:24] offset:11264
	ds_write_b128 v95, v[37:40]
	ds_write_b128 v20, v[25:28] offset:11264
	ds_write_b128 v20, v[41:44]
	ds_write_b128 v19, v[4:7]
	ds_write_b128 v19, v[29:32] offset:11264
	ds_write_b128 v18, v[14:17]
	ds_write_b128 v18, v[33:36] offset:11264
	s_waitcnt lgkmcnt(0)
	s_barrier
	buffer_gl0_inv
	ds_read_b128 v[4:7], v95
	v_sub_nc_u32_e32 v21, 0, v96
                                        ; implicit-def: $vgpr14_vgpr15
                                        ; implicit-def: $vgpr16_vgpr17
	v_cmpx_ne_u32_e32 0, v88
	s_xor_b32 s5, exec_lo, s5
	s_cbranch_execz .LBB0_19
; %bb.18:
	v_add_co_u32 v0, s0, s1, v2
	v_add_co_ci_u32_e64 v1, s0, s4, v3, s0
	global_load_dwordx4 v[22:25], v[0:1], off
	ds_read_b128 v[0:3], v21 offset:22528
	s_waitcnt lgkmcnt(0)
	v_add_f64 v[14:15], v[4:5], -v[0:1]
	v_add_f64 v[16:17], v[6:7], v[2:3]
	v_add_f64 v[2:3], v[6:7], -v[2:3]
	v_add_f64 v[0:1], v[4:5], v[0:1]
	v_mul_f64 v[6:7], v[14:15], 0.5
	v_mul_f64 v[4:5], v[16:17], 0.5
	;; [unrolled: 1-line block ×3, first 2 shown]
	s_waitcnt vmcnt(0)
	v_mul_f64 v[14:15], v[6:7], v[24:25]
	v_fma_f64 v[16:17], v[4:5], v[24:25], v[2:3]
	v_fma_f64 v[2:3], v[4:5], v[24:25], -v[2:3]
	v_fma_f64 v[26:27], v[0:1], 0.5, v[14:15]
	v_fma_f64 v[0:1], v[0:1], 0.5, -v[14:15]
	v_fma_f64 v[16:17], -v[22:23], v[6:7], v[16:17]
	v_fma_f64 v[2:3], -v[22:23], v[6:7], v[2:3]
	v_fma_f64 v[14:15], v[4:5], v[22:23], v[26:27]
	v_fma_f64 v[0:1], -v[4:5], v[22:23], v[0:1]
                                        ; implicit-def: $vgpr4_vgpr5
.LBB0_19:
	s_andn2_saveexec_b32 s0, s5
	s_cbranch_execz .LBB0_21
; %bb.20:
	v_mov_b32_e32 v24, 0
	s_waitcnt lgkmcnt(0)
	v_add_f64 v[14:15], v[4:5], v[6:7]
	v_add_f64 v[0:1], v[4:5], -v[6:7]
	v_mov_b32_e32 v16, 0
	v_mov_b32_e32 v17, 0
	ds_read_b64 v[22:23], v24 offset:11272
	v_mov_b32_e32 v2, v16
	v_mov_b32_e32 v3, v17
	s_waitcnt lgkmcnt(0)
	v_xor_b32_e32 v23, 0x80000000, v23
	ds_write_b64 v24, v[22:23] offset:11272
.LBB0_21:
	s_or_b32 exec_lo, exec_lo, s0
	s_waitcnt lgkmcnt(0)
	v_add_co_u32 v4, s0, s1, v12
	v_add_co_ci_u32_e64 v5, s0, s4, v13, s0
	v_add_co_u32 v10, s0, s1, v10
	v_add_co_ci_u32_e64 v11, s0, s4, v11, s0
	global_load_dwordx4 v[4:7], v[4:5], off
	v_add_co_u32 v8, s0, s1, v8
	global_load_dwordx4 v[10:13], v[10:11], off
	v_add_co_ci_u32_e64 v9, s0, s4, v9, s0
	ds_write2_b64 v95, v[14:15], v[16:17] offset1:1
	ds_write_b128 v21, v[0:3] offset:22528
	ds_read_b128 v[0:3], v20
	ds_read_b128 v[14:17], v21 offset:19712
	global_load_dwordx4 v[22:25], v[8:9], off
	s_waitcnt lgkmcnt(0)
	v_add_f64 v[8:9], v[0:1], -v[14:15]
	v_add_f64 v[26:27], v[2:3], v[16:17]
	v_add_f64 v[2:3], v[2:3], -v[16:17]
	v_add_f64 v[0:1], v[0:1], v[14:15]
	v_mul_f64 v[8:9], v[8:9], 0.5
	v_mul_f64 v[16:17], v[26:27], 0.5
	;; [unrolled: 1-line block ×3, first 2 shown]
	s_waitcnt vmcnt(2)
	v_mul_f64 v[14:15], v[8:9], v[6:7]
	v_fma_f64 v[26:27], v[16:17], v[6:7], v[2:3]
	v_fma_f64 v[2:3], v[16:17], v[6:7], -v[2:3]
	v_fma_f64 v[6:7], v[0:1], 0.5, v[14:15]
	v_fma_f64 v[0:1], v[0:1], 0.5, -v[14:15]
	v_fma_f64 v[14:15], -v[4:5], v[8:9], v[26:27]
	v_fma_f64 v[2:3], -v[4:5], v[8:9], v[2:3]
	v_fma_f64 v[6:7], v[16:17], v[4:5], v[6:7]
	v_fma_f64 v[0:1], -v[16:17], v[4:5], v[0:1]
	ds_write_b64 v20, v[14:15] offset:8
	ds_write_b64 v21, v[2:3] offset:19720
	ds_write_b64 v20, v[6:7]
	ds_write_b64 v21, v[0:1] offset:19712
	ds_read_b128 v[0:3], v19
	ds_read_b128 v[4:7], v21 offset:16896
	s_waitcnt lgkmcnt(0)
	v_add_f64 v[8:9], v[0:1], -v[4:5]
	v_add_f64 v[14:15], v[2:3], v[6:7]
	v_add_f64 v[2:3], v[2:3], -v[6:7]
	v_add_f64 v[0:1], v[0:1], v[4:5]
	v_mul_f64 v[6:7], v[8:9], 0.5
	v_mul_f64 v[8:9], v[14:15], 0.5
	;; [unrolled: 1-line block ×3, first 2 shown]
	s_waitcnt vmcnt(1)
	v_mul_f64 v[4:5], v[6:7], v[12:13]
	v_fma_f64 v[14:15], v[8:9], v[12:13], v[2:3]
	v_fma_f64 v[2:3], v[8:9], v[12:13], -v[2:3]
	v_fma_f64 v[12:13], v[0:1], 0.5, v[4:5]
	v_fma_f64 v[0:1], v[0:1], 0.5, -v[4:5]
	v_fma_f64 v[4:5], -v[10:11], v[6:7], v[14:15]
	v_fma_f64 v[2:3], -v[10:11], v[6:7], v[2:3]
	v_fma_f64 v[6:7], v[8:9], v[10:11], v[12:13]
	v_fma_f64 v[0:1], -v[8:9], v[10:11], v[0:1]
	ds_write_b64 v19, v[4:5] offset:8
	ds_write_b64 v21, v[2:3] offset:16904
	ds_write_b64 v19, v[6:7]
	ds_write_b64 v21, v[0:1] offset:16896
	ds_read_b128 v[0:3], v18
	ds_read_b128 v[4:7], v21 offset:14080
	s_waitcnt lgkmcnt(0)
	v_add_f64 v[8:9], v[0:1], -v[4:5]
	v_add_f64 v[10:11], v[2:3], v[6:7]
	v_add_f64 v[2:3], v[2:3], -v[6:7]
	v_add_f64 v[0:1], v[0:1], v[4:5]
	v_mul_f64 v[6:7], v[8:9], 0.5
	v_mul_f64 v[8:9], v[10:11], 0.5
	;; [unrolled: 1-line block ×3, first 2 shown]
	s_waitcnt vmcnt(0)
	v_mul_f64 v[4:5], v[6:7], v[24:25]
	v_fma_f64 v[10:11], v[8:9], v[24:25], v[2:3]
	v_fma_f64 v[2:3], v[8:9], v[24:25], -v[2:3]
	v_fma_f64 v[12:13], v[0:1], 0.5, v[4:5]
	v_fma_f64 v[0:1], v[0:1], 0.5, -v[4:5]
	v_fma_f64 v[4:5], -v[22:23], v[6:7], v[10:11]
	v_fma_f64 v[2:3], -v[22:23], v[6:7], v[2:3]
	v_fma_f64 v[6:7], v[8:9], v[22:23], v[12:13]
	v_fma_f64 v[0:1], -v[8:9], v[22:23], v[0:1]
	ds_write_b64 v18, v[4:5] offset:8
	ds_write_b64 v21, v[2:3] offset:14088
	ds_write_b64 v18, v[6:7]
	ds_write_b64 v21, v[0:1] offset:14080
	s_waitcnt lgkmcnt(0)
	s_barrier
	buffer_gl0_inv
	s_and_saveexec_b32 s0, vcc_lo
	s_cbranch_execz .LBB0_24
; %bb.22:
	v_mul_lo_u32 v2, s3, v86
	v_mul_lo_u32 v3, s2, v87
	v_mad_u64_u32 v[0:1], null, s2, v86, 0
	v_mov_b32_e32 v89, 0
	v_lshlrev_b64 v[10:11], 4, v[84:85]
	v_lshl_add_u32 v28, v88, 4, 0
	v_add_nc_u32_e32 v12, 0xb0, v88
	v_add_nc_u32_e32 v14, 0x160, v88
	v_lshlrev_b64 v[16:17], 4, v[88:89]
	v_add3_u32 v1, v1, v3, v2
	v_mov_b32_e32 v13, v89
	v_mov_b32_e32 v15, v89
	ds_read_b128 v[2:5], v28
	ds_read_b128 v[6:9], v28 offset:2816
	v_add_nc_u32_e32 v24, 0x210, v88
	v_lshlrev_b64 v[0:1], 4, v[0:1]
	v_lshlrev_b64 v[18:19], 4, v[12:13]
	;; [unrolled: 1-line block ×3, first 2 shown]
	v_mov_b32_e32 v25, v89
	v_add_nc_u32_e32 v26, 0x2c0, v88
	v_mov_b32_e32 v27, v89
	v_add_co_u32 v0, vcc_lo, s10, v0
	v_add_co_ci_u32_e32 v1, vcc_lo, s11, v1, vcc_lo
	v_lshlrev_b64 v[24:25], 4, v[24:25]
	v_add_co_u32 v0, vcc_lo, v0, v10
	v_add_co_ci_u32_e32 v1, vcc_lo, v1, v11, vcc_lo
	v_add_co_u32 v22, vcc_lo, v0, v16
	v_add_co_ci_u32_e32 v23, vcc_lo, v1, v17, vcc_lo
	ds_read_b128 v[10:13], v28 offset:5632
	ds_read_b128 v[14:17], v28 offset:8448
	v_add_co_u32 v18, vcc_lo, v0, v18
	v_add_co_ci_u32_e32 v19, vcc_lo, v1, v19, vcc_lo
	v_add_co_u32 v20, vcc_lo, v0, v20
	v_add_co_ci_u32_e32 v21, vcc_lo, v1, v21, vcc_lo
	;; [unrolled: 2-line block ×3, first 2 shown]
	s_waitcnt lgkmcnt(3)
	global_store_dwordx4 v[22:23], v[2:5], off
	s_waitcnt lgkmcnt(2)
	global_store_dwordx4 v[18:19], v[6:9], off
	;; [unrolled: 2-line block ×4, first 2 shown]
	v_lshlrev_b64 v[2:3], 4, v[26:27]
	v_add_nc_u32_e32 v10, 0x370, v88
	v_mov_b32_e32 v11, v89
	v_add_nc_u32_e32 v12, 0x420, v88
	v_mov_b32_e32 v13, v89
	v_add_nc_u32_e32 v24, 0x4d0, v88
	v_add_co_u32 v18, vcc_lo, v0, v2
	v_add_co_ci_u32_e32 v19, vcc_lo, v1, v3, vcc_lo
	ds_read_b128 v[2:5], v28 offset:11264
	ds_read_b128 v[6:9], v28 offset:14080
	v_lshlrev_b64 v[20:21], 4, v[10:11]
	v_lshlrev_b64 v[22:23], 4, v[12:13]
	ds_read_b128 v[10:13], v28 offset:16896
	ds_read_b128 v[14:17], v28 offset:19712
	v_mov_b32_e32 v25, v89
	v_add_co_u32 v20, vcc_lo, v0, v20
	v_lshlrev_b64 v[24:25], 4, v[24:25]
	v_add_co_ci_u32_e32 v21, vcc_lo, v1, v21, vcc_lo
	v_add_co_u32 v22, vcc_lo, v0, v22
	v_add_co_ci_u32_e32 v23, vcc_lo, v1, v23, vcc_lo
	v_add_co_u32 v24, vcc_lo, v0, v24
	v_add_co_ci_u32_e32 v25, vcc_lo, v1, v25, vcc_lo
	v_cmp_eq_u32_e32 vcc_lo, 0xaf, v88
	s_waitcnt lgkmcnt(3)
	global_store_dwordx4 v[18:19], v[2:5], off
	s_waitcnt lgkmcnt(2)
	global_store_dwordx4 v[20:21], v[6:9], off
	;; [unrolled: 2-line block ×4, first 2 shown]
	s_and_b32 exec_lo, exec_lo, vcc_lo
	s_cbranch_execz .LBB0_24
; %bb.23:
	ds_read_b128 v[2:5], v89 offset:22528
	v_add_co_u32 v0, vcc_lo, 0x5800, v0
	v_add_co_ci_u32_e32 v1, vcc_lo, 0, v1, vcc_lo
	s_waitcnt lgkmcnt(0)
	global_store_dwordx4 v[0:1], v[2:5], off
.LBB0_24:
	s_endpgm
	.section	.rodata,"a",@progbits
	.p2align	6, 0x0
	.amdhsa_kernel fft_rtc_fwd_len1408_factors_2_2_2_2_2_2_11_2_wgs_176_tpt_176_halfLds_dp_op_CI_CI_unitstride_sbrr_R2C_dirReg
		.amdhsa_group_segment_fixed_size 0
		.amdhsa_private_segment_fixed_size 0
		.amdhsa_kernarg_size 104
		.amdhsa_user_sgpr_count 6
		.amdhsa_user_sgpr_private_segment_buffer 1
		.amdhsa_user_sgpr_dispatch_ptr 0
		.amdhsa_user_sgpr_queue_ptr 0
		.amdhsa_user_sgpr_kernarg_segment_ptr 1
		.amdhsa_user_sgpr_dispatch_id 0
		.amdhsa_user_sgpr_flat_scratch_init 0
		.amdhsa_user_sgpr_private_segment_size 0
		.amdhsa_wavefront_size32 1
		.amdhsa_uses_dynamic_stack 0
		.amdhsa_system_sgpr_private_segment_wavefront_offset 0
		.amdhsa_system_sgpr_workgroup_id_x 1
		.amdhsa_system_sgpr_workgroup_id_y 0
		.amdhsa_system_sgpr_workgroup_id_z 0
		.amdhsa_system_sgpr_workgroup_info 0
		.amdhsa_system_vgpr_workitem_id 0
		.amdhsa_next_free_vgpr 253
		.amdhsa_next_free_sgpr 38
		.amdhsa_reserve_vcc 1
		.amdhsa_reserve_flat_scratch 0
		.amdhsa_float_round_mode_32 0
		.amdhsa_float_round_mode_16_64 0
		.amdhsa_float_denorm_mode_32 3
		.amdhsa_float_denorm_mode_16_64 3
		.amdhsa_dx10_clamp 1
		.amdhsa_ieee_mode 1
		.amdhsa_fp16_overflow 0
		.amdhsa_workgroup_processor_mode 1
		.amdhsa_memory_ordered 1
		.amdhsa_forward_progress 0
		.amdhsa_shared_vgpr_count 0
		.amdhsa_exception_fp_ieee_invalid_op 0
		.amdhsa_exception_fp_denorm_src 0
		.amdhsa_exception_fp_ieee_div_zero 0
		.amdhsa_exception_fp_ieee_overflow 0
		.amdhsa_exception_fp_ieee_underflow 0
		.amdhsa_exception_fp_ieee_inexact 0
		.amdhsa_exception_int_div_zero 0
	.end_amdhsa_kernel
	.text
.Lfunc_end0:
	.size	fft_rtc_fwd_len1408_factors_2_2_2_2_2_2_11_2_wgs_176_tpt_176_halfLds_dp_op_CI_CI_unitstride_sbrr_R2C_dirReg, .Lfunc_end0-fft_rtc_fwd_len1408_factors_2_2_2_2_2_2_11_2_wgs_176_tpt_176_halfLds_dp_op_CI_CI_unitstride_sbrr_R2C_dirReg
                                        ; -- End function
	.section	.AMDGPU.csdata,"",@progbits
; Kernel info:
; codeLenInByte = 10176
; NumSgprs: 40
; NumVgprs: 253
; ScratchSize: 0
; MemoryBound: 0
; FloatMode: 240
; IeeeMode: 1
; LDSByteSize: 0 bytes/workgroup (compile time only)
; SGPRBlocks: 4
; VGPRBlocks: 31
; NumSGPRsForWavesPerEU: 40
; NumVGPRsForWavesPerEU: 253
; Occupancy: 4
; WaveLimiterHint : 1
; COMPUTE_PGM_RSRC2:SCRATCH_EN: 0
; COMPUTE_PGM_RSRC2:USER_SGPR: 6
; COMPUTE_PGM_RSRC2:TRAP_HANDLER: 0
; COMPUTE_PGM_RSRC2:TGID_X_EN: 1
; COMPUTE_PGM_RSRC2:TGID_Y_EN: 0
; COMPUTE_PGM_RSRC2:TGID_Z_EN: 0
; COMPUTE_PGM_RSRC2:TIDIG_COMP_CNT: 0
	.text
	.p2alignl 6, 3214868480
	.fill 48, 4, 3214868480
	.type	__hip_cuid_e08d25c418f2ca35,@object ; @__hip_cuid_e08d25c418f2ca35
	.section	.bss,"aw",@nobits
	.globl	__hip_cuid_e08d25c418f2ca35
__hip_cuid_e08d25c418f2ca35:
	.byte	0                               ; 0x0
	.size	__hip_cuid_e08d25c418f2ca35, 1

	.ident	"AMD clang version 19.0.0git (https://github.com/RadeonOpenCompute/llvm-project roc-6.4.0 25133 c7fe45cf4b819c5991fe208aaa96edf142730f1d)"
	.section	".note.GNU-stack","",@progbits
	.addrsig
	.addrsig_sym __hip_cuid_e08d25c418f2ca35
	.amdgpu_metadata
---
amdhsa.kernels:
  - .args:
      - .actual_access:  read_only
        .address_space:  global
        .offset:         0
        .size:           8
        .value_kind:     global_buffer
      - .offset:         8
        .size:           8
        .value_kind:     by_value
      - .actual_access:  read_only
        .address_space:  global
        .offset:         16
        .size:           8
        .value_kind:     global_buffer
      - .actual_access:  read_only
        .address_space:  global
        .offset:         24
        .size:           8
        .value_kind:     global_buffer
      - .actual_access:  read_only
        .address_space:  global
        .offset:         32
        .size:           8
        .value_kind:     global_buffer
      - .offset:         40
        .size:           8
        .value_kind:     by_value
      - .actual_access:  read_only
        .address_space:  global
        .offset:         48
        .size:           8
        .value_kind:     global_buffer
      - .actual_access:  read_only
        .address_space:  global
        .offset:         56
        .size:           8
        .value_kind:     global_buffer
      - .offset:         64
        .size:           4
        .value_kind:     by_value
      - .actual_access:  read_only
        .address_space:  global
        .offset:         72
        .size:           8
        .value_kind:     global_buffer
      - .actual_access:  read_only
        .address_space:  global
        .offset:         80
        .size:           8
        .value_kind:     global_buffer
      - .actual_access:  read_only
        .address_space:  global
        .offset:         88
        .size:           8
        .value_kind:     global_buffer
      - .actual_access:  write_only
        .address_space:  global
        .offset:         96
        .size:           8
        .value_kind:     global_buffer
    .group_segment_fixed_size: 0
    .kernarg_segment_align: 8
    .kernarg_segment_size: 104
    .language:       OpenCL C
    .language_version:
      - 2
      - 0
    .max_flat_workgroup_size: 176
    .name:           fft_rtc_fwd_len1408_factors_2_2_2_2_2_2_11_2_wgs_176_tpt_176_halfLds_dp_op_CI_CI_unitstride_sbrr_R2C_dirReg
    .private_segment_fixed_size: 0
    .sgpr_count:     40
    .sgpr_spill_count: 0
    .symbol:         fft_rtc_fwd_len1408_factors_2_2_2_2_2_2_11_2_wgs_176_tpt_176_halfLds_dp_op_CI_CI_unitstride_sbrr_R2C_dirReg.kd
    .uniform_work_group_size: 1
    .uses_dynamic_stack: false
    .vgpr_count:     253
    .vgpr_spill_count: 0
    .wavefront_size: 32
    .workgroup_processor_mode: 1
amdhsa.target:   amdgcn-amd-amdhsa--gfx1030
amdhsa.version:
  - 1
  - 2
...

	.end_amdgpu_metadata
